;; amdgpu-corpus repo=ROCm/rocFFT kind=compiled arch=gfx1030 opt=O3
	.text
	.amdgcn_target "amdgcn-amd-amdhsa--gfx1030"
	.amdhsa_code_object_version 6
	.protected	bluestein_single_back_len1152_dim1_sp_op_CI_CI ; -- Begin function bluestein_single_back_len1152_dim1_sp_op_CI_CI
	.globl	bluestein_single_back_len1152_dim1_sp_op_CI_CI
	.p2align	8
	.type	bluestein_single_back_len1152_dim1_sp_op_CI_CI,@function
bluestein_single_back_len1152_dim1_sp_op_CI_CI: ; @bluestein_single_back_len1152_dim1_sp_op_CI_CI
; %bb.0:
	s_load_dwordx4 s[8:11], s[4:5], 0x28
	v_mul_u32_u24_e32 v1, 0x1c8, v0
	v_mov_b32_e32 v53, 0
	s_mov_b32 s0, exec_lo
	v_lshrrev_b32_e32 v1, 16, v1
	v_add_nc_u32_e32 v52, s6, v1
	s_waitcnt lgkmcnt(0)
	v_cmpx_gt_u64_e64 s[8:9], v[52:53]
	s_cbranch_execz .LBB0_18
; %bb.1:
	s_clause 0x1
	s_load_dwordx4 s[0:3], s[4:5], 0x18
	s_load_dwordx4 s[12:15], s[4:5], 0x0
	v_mul_lo_u16 v1, 0x90, v1
	v_sub_nc_u16 v23, v0, v1
	v_and_b32_e32 v77, 0xffff, v23
	v_lshlrev_b32_e32 v78, 3, v77
	s_waitcnt lgkmcnt(0)
	s_load_dwordx4 s[16:19], s[0:1], 0x0
	s_clause 0x1
	global_load_dwordx2 v[57:58], v78, s[12:13]
	global_load_dwordx2 v[55:56], v78, s[12:13] offset:1152
	v_add_co_u32 v12, s0, s12, v78
	v_add_co_ci_u32_e64 v13, null, s13, 0, s0
	v_add_nc_u32_e32 v24, 0x1000, v78
	v_add_nc_u32_e32 v22, 0x800, v78
	;; [unrolled: 1-line block ×3, first 2 shown]
	s_waitcnt lgkmcnt(0)
	v_mad_u64_u32 v[0:1], null, s18, v52, 0
	v_mad_u64_u32 v[2:3], null, s16, v77, 0
	s_mul_i32 s0, s17, 0x900
	s_mul_hi_u32 s1, s16, 0x900
	s_mul_i32 s6, s16, 0x900
	s_add_i32 s1, s1, s0
	s_mul_i32 s0, s17, 0xffffe980
	v_mad_u64_u32 v[4:5], null, s19, v52, v[1:2]
	s_sub_i32 s0, s0, s16
	v_mad_u64_u32 v[5:6], null, s17, v77, v[3:4]
	v_mov_b32_e32 v1, v4
	v_lshlrev_b64 v[0:1], 3, v[0:1]
	v_mov_b32_e32 v3, v5
	v_add_co_u32 v0, vcc_lo, s10, v0
	v_lshlrev_b64 v[2:3], 3, v[2:3]
	v_add_co_ci_u32_e32 v1, vcc_lo, s11, v1, vcc_lo
	v_add_co_u32 v0, vcc_lo, v0, v2
	v_add_co_ci_u32_e32 v1, vcc_lo, v1, v3, vcc_lo
	v_add_co_u32 v2, vcc_lo, v0, s6
	;; [unrolled: 2-line block ×7, first 2 shown]
	v_add_co_ci_u32_e32 v13, vcc_lo, 0, v13, vcc_lo
	v_mad_u64_u32 v[14:15], null, 0xffffe980, s16, v[10:11]
	global_load_dwordx2 v[65:66], v[8:9], off offset:512
	s_clause 0x1
	global_load_dwordx2 v[0:1], v[0:1], off
	global_load_dwordx2 v[2:3], v[2:3], off
	s_clause 0x1
	global_load_dwordx2 v[67:68], v[4:5], off offset:256
	global_load_dwordx2 v[61:62], v[12:13], off offset:768
	global_load_dwordx2 v[6:7], v[6:7], off
	global_load_dwordx2 v[53:54], v[4:5], off offset:1408
	global_load_dwordx2 v[4:5], v[10:11], off
	v_add_nc_u32_e32 v15, s0, v15
	v_add_co_u32 v10, vcc_lo, v14, s6
	v_add_co_ci_u32_e32 v11, vcc_lo, s1, v15, vcc_lo
	v_add_co_u32 v16, vcc_lo, v10, s6
	global_load_dwordx2 v[14:15], v[14:15], off
	v_add_co_ci_u32_e32 v17, vcc_lo, s1, v11, vcc_lo
	global_load_dwordx2 v[10:11], v[10:11], off
	v_add_co_u32 v18, vcc_lo, v16, s6
	v_add_co_ci_u32_e32 v19, vcc_lo, s1, v17, vcc_lo
	global_load_dwordx2 v[59:60], v[8:9], off offset:1664
	global_load_dwordx2 v[8:9], v[16:17], off
	global_load_dwordx2 v[63:64], v[12:13], off offset:1920
	global_load_dwordx2 v[12:13], v[18:19], off
	s_load_dwordx4 s[8:11], s[2:3], 0x0
	s_load_dwordx2 s[2:3], s[4:5], 0x38
	v_cmp_gt_u16_e32 vcc_lo, 0x60, v23
	s_waitcnt vmcnt(12)
	v_mul_f32_e32 v16, v1, v58
	v_mul_f32_e32 v26, v0, v58
	s_waitcnt vmcnt(10)
	v_mul_f32_e32 v17, v2, v68
	v_mul_f32_e32 v18, v3, v68
	s_waitcnt vmcnt(8)
	v_mul_f32_e32 v20, v7, v66
	v_fmac_f32_e32 v16, v0, v57
	s_waitcnt vmcnt(6)
	v_mul_f32_e32 v0, v5, v62
	v_fma_f32 v19, v3, v67, -v17
	v_fma_f32 v17, v1, v57, -v26
	v_mul_f32_e32 v1, v4, v62
	v_mul_f32_e32 v21, v6, v66
	v_fmac_f32_e32 v18, v2, v67
	v_fmac_f32_e32 v0, v4, v61
	;; [unrolled: 1-line block ×3, first 2 shown]
	v_fma_f32 v1, v5, v61, -v1
	v_fma_f32 v21, v7, v65, -v21
	ds_write_b64 v78, v[18:19] offset:2304
	s_waitcnt vmcnt(5)
	v_mul_f32_e32 v2, v15, v56
	v_mul_f32_e32 v3, v14, v56
	s_waitcnt vmcnt(4)
	v_mul_f32_e32 v4, v11, v54
	v_mul_f32_e32 v5, v10, v54
	v_fmac_f32_e32 v2, v14, v55
	s_waitcnt vmcnt(2)
	v_mul_f32_e32 v6, v9, v60
	v_mul_f32_e32 v7, v8, v60
	v_fmac_f32_e32 v4, v10, v53
	s_waitcnt vmcnt(0)
	v_mul_f32_e32 v10, v13, v64
	v_mul_f32_e32 v14, v12, v64
	v_fma_f32 v3, v15, v55, -v3
	v_fma_f32 v5, v11, v53, -v5
	v_fmac_f32_e32 v6, v8, v59
	v_fma_f32 v7, v9, v59, -v7
	v_fmac_f32_e32 v10, v12, v63
	v_fma_f32 v11, v13, v63, -v14
	ds_write_b64 v78, v[20:21] offset:4608
	ds_write_b64 v78, v[0:1] offset:6912
	ds_write2_b64 v78, v[16:17], v[2:3] offset1:144
	ds_write_b64 v78, v[4:5] offset:3456
	ds_write_b64 v78, v[6:7] offset:5760
	;; [unrolled: 1-line block ×3, first 2 shown]
	s_waitcnt lgkmcnt(0)
	s_barrier
	buffer_gl0_inv
	ds_read2_b64 v[0:3], v78 offset1:144
	ds_read2_b64 v[4:7], v24 offset0:64 offset1:208
	ds_read2_b64 v[8:11], v22 offset0:32 offset1:176
	;; [unrolled: 1-line block ×3, first 2 shown]
	v_mov_b32_e32 v16, 3
	v_lshlrev_b16 v17, 2, v23
	v_add_co_u32 v22, s0, 0x90, v77
	v_add_co_ci_u32_e64 v18, null, 0, 0, s0
	v_lshlrev_b32_sdwa v46, v16, v17 dst_sel:DWORD dst_unused:UNUSED_PAD src0_sel:DWORD src1_sel:WORD_0
	v_lshlrev_b32_e32 v47, 5, v22
	v_add_nc_u32_e32 v18, 0xc00, v78
	s_waitcnt lgkmcnt(0)
	s_barrier
	buffer_gl0_inv
	v_sub_f32_e32 v4, v0, v4
	v_sub_f32_e32 v5, v1, v5
	;; [unrolled: 1-line block ×8, first 2 shown]
	v_fma_f32 v0, v0, 2.0, -v4
	v_fma_f32 v1, v1, 2.0, -v5
	v_fma_f32 v8, v8, 2.0, -v16
	v_fma_f32 v9, v9, 2.0, -v12
	v_sub_f32_e32 v12, v4, v12
	v_add_f32_e32 v13, v5, v16
	v_fma_f32 v14, v2, 2.0, -v17
	v_fma_f32 v15, v3, 2.0, -v19
	;; [unrolled: 1-line block ×4, first 2 shown]
	v_sub_f32_e32 v10, v0, v8
	v_sub_f32_e32 v11, v1, v9
	;; [unrolled: 1-line block ×3, first 2 shown]
	v_add_f32_e32 v7, v19, v7
	v_fma_f32 v2, v4, 2.0, -v12
	v_fma_f32 v3, v5, 2.0, -v13
	v_sub_f32_e32 v4, v14, v16
	v_sub_f32_e32 v5, v15, v20
	v_fma_f32 v0, v0, 2.0, -v10
	v_fma_f32 v1, v1, 2.0, -v11
	;; [unrolled: 1-line block ×6, first 2 shown]
	ds_write_b128 v46, v[10:13] offset:16
	ds_write_b128 v47, v[4:7] offset:16
	ds_write_b128 v46, v[0:3]
	ds_write_b128 v47, v[14:17]
	s_waitcnt lgkmcnt(0)
	s_barrier
	buffer_gl0_inv
	ds_read2_b64 v[8:11], v78 offset1:144
	ds_read2_b64 v[12:15], v18 offset1:144
	;; [unrolled: 1-line block ×3, first 2 shown]
                                        ; implicit-def: $vgpr20
	s_and_saveexec_b32 s0, vcc_lo
	s_cbranch_execz .LBB0_3
; %bb.2:
	v_add_nc_u32_e32 v0, 0x100, v78
	ds_read2st64_b64 v[4:7], v0 offset0:4 offset1:10
	ds_read_b64 v[20:21], v78 offset:8448
.LBB0_3:
	s_or_b32 exec_lo, exec_lo, s0
	v_and_b32_e32 v79, 3, v77
	v_lshrrev_b32_e32 v24, 2, v77
	v_lshrrev_b32_e32 v25, 2, v22
	v_add_co_u32 v23, null, 0x120, v77
	v_lshlrev_b32_e32 v0, 4, v79
	v_mul_u32_u24_e32 v24, 12, v24
	v_mul_u32_u24_e32 v25, 12, v25
	v_lshrrev_b32_e32 v80, 2, v23
	global_load_dwordx4 v[0:3], v0, s[14:15]
	v_or_b32_e32 v24, v24, v79
	v_or_b32_e32 v25, v25, v79
	s_waitcnt vmcnt(0) lgkmcnt(0)
	s_barrier
	buffer_gl0_inv
	v_lshlrev_b32_e32 v82, 3, v24
	v_lshlrev_b32_e32 v81, 3, v25
	v_mul_f32_e32 v26, v13, v1
	v_mul_f32_e32 v27, v12, v1
	;; [unrolled: 1-line block ×12, first 2 shown]
	v_fma_f32 v26, v12, v0, -v26
	v_fmac_f32_e32 v27, v13, v0
	v_fma_f32 v16, v16, v2, -v28
	v_fmac_f32_e32 v29, v17, v2
	;; [unrolled: 2-line block ×6, first 2 shown]
	v_add_f32_e32 v14, v8, v26
	v_add_f32_e32 v15, v26, v16
	;; [unrolled: 1-line block ×6, first 2 shown]
	v_sub_f32_e32 v21, v27, v29
	v_add_f32_e32 v27, v13, v18
	v_sub_f32_e32 v28, v31, v33
	v_add_f32_e32 v30, v11, v31
	v_add_f32_e32 v31, v31, v33
	v_sub_f32_e32 v26, v26, v16
	v_add_f32_e32 v20, v10, v13
	v_sub_f32_e32 v32, v13, v18
	v_sub_f32_e32 v7, v25, v24
	;; [unrolled: 1-line block ×3, first 2 shown]
	v_add_f32_e32 v14, v14, v16
	v_fma_f32 v16, -0.5, v15, v8
	v_add_f32_e32 v15, v17, v29
	v_fma_f32 v17, -0.5, v19, v9
	v_fma_f32 v8, -0.5, v34, v4
	;; [unrolled: 1-line block ×4, first 2 shown]
	v_fmac_f32_e32 v11, -0.5, v31
	v_add_f32_e32 v18, v20, v18
	v_fmamk_f32 v20, v21, 0x3f5db3d7, v16
	v_fmac_f32_e32 v16, 0xbf5db3d7, v21
	v_fmamk_f32 v21, v26, 0xbf5db3d7, v17
	v_fmamk_f32 v44, v7, 0xbf5db3d7, v8
	v_fmamk_f32 v45, v13, 0x3f5db3d7, v9
	v_fmac_f32_e32 v17, 0x3f5db3d7, v26
	v_add_f32_e32 v19, v30, v33
	v_fmamk_f32 v26, v28, 0x3f5db3d7, v10
	v_fmamk_f32 v27, v32, 0xbf5db3d7, v11
	v_fmac_f32_e32 v10, 0xbf5db3d7, v28
	v_fmac_f32_e32 v11, 0x3f5db3d7, v32
	ds_write2_b64 v82, v[14:15], v[20:21] offset1:4
	ds_write_b64 v82, v[16:17] offset:64
	ds_write2_b64 v81, v[18:19], v[26:27] offset1:4
	ds_write_b64 v81, v[10:11] offset:64
	s_and_saveexec_b32 s0, vcc_lo
	s_cbranch_execz .LBB0_5
; %bb.4:
	v_mul_u32_u24_e32 v10, 12, v80
	v_add_f32_e32 v5, v5, v25
	v_add_f32_e32 v4, v4, v12
	v_mul_f32_e32 v11, 0x3f5db3d7, v13
	v_mul_f32_e32 v12, 0x3f5db3d7, v7
	v_or_b32_e32 v10, v10, v79
	v_add_f32_e32 v5, v5, v24
	v_add_f32_e32 v4, v4, v6
	v_sub_f32_e32 v7, v9, v11
	v_add_f32_e32 v6, v12, v8
	v_lshlrev_b32_e32 v8, 3, v10
	ds_write2_b64 v8, v[4:5], v[6:7] offset1:4
	ds_write_b64 v8, v[44:45] offset:64
.LBB0_5:
	s_or_b32 exec_lo, exec_lo, s0
	v_and_b32_e32 v4, 0xff, v77
	s_waitcnt lgkmcnt(0)
	s_barrier
	buffer_gl0_inv
	v_add_nc_u32_e32 v24, 0x800, v78
	v_mul_lo_u16 v4, 0xab, v4
	v_add_nc_u32_e32 v28, 0x1000, v78
	v_mov_b32_e32 v32, 0x60
	v_add_nc_u32_e32 v40, 0x1800, v78
	v_add_nc_u32_e32 v36, 0xc00, v78
	v_lshrrev_b16 v20, 11, v4
	v_mul_lo_u16 v4, v20, 12
	v_mul_u32_u24_sdwa v20, v20, v32 dst_sel:DWORD dst_unused:UNUSED_PAD src0_sel:WORD_0 src1_sel:DWORD
	v_sub_nc_u16 v4, v77, v4
	v_and_b32_e32 v21, 0xff, v4
	v_mad_u64_u32 v[16:17], null, v21, 56, s[14:15]
	v_or_b32_e32 v20, v20, v21
	s_clause 0x3
	global_load_dwordx4 v[12:15], v[16:17], off offset:64
	global_load_dwordx4 v[8:11], v[16:17], off offset:80
	;; [unrolled: 1-line block ×3, first 2 shown]
	global_load_dwordx2 v[69:70], v[16:17], off offset:112
	ds_read2_b64 v[16:19], v78 offset1:144
	ds_read2_b64 v[24:27], v24 offset0:32 offset1:176
	ds_read2_b64 v[28:31], v28 offset0:64 offset1:208
	;; [unrolled: 1-line block ×3, first 2 shown]
	v_lshlrev_b32_e32 v84, 3, v20
	s_waitcnt vmcnt(0) lgkmcnt(0)
	s_barrier
	buffer_gl0_inv
	v_mul_f32_e32 v20, v19, v13
	v_mul_f32_e32 v21, v18, v13
	;; [unrolled: 1-line block ×14, first 2 shown]
	v_fma_f32 v18, v18, v12, -v20
	v_fmac_f32_e32 v21, v19, v12
	v_fma_f32 v19, v24, v14, -v37
	v_fmac_f32_e32 v38, v25, v14
	v_fma_f32 v20, v26, v8, -v39
	v_fmac_f32_e32 v41, v27, v8
	v_fma_f32 v24, v28, v10, -v42
	v_fmac_f32_e32 v43, v29, v10
	v_fma_f32 v25, v30, v4, -v48
	v_fmac_f32_e32 v49, v31, v4
	v_fma_f32 v26, v32, v6, -v50
	v_fmac_f32_e32 v51, v33, v6
	v_fma_f32 v27, v34, v69, -v71
	v_fmac_f32_e32 v72, v35, v69
	v_sub_f32_e32 v24, v16, v24
	v_sub_f32_e32 v28, v17, v43
	;; [unrolled: 1-line block ×8, first 2 shown]
	v_fma_f32 v16, v16, 2.0, -v24
	v_fma_f32 v17, v17, 2.0, -v28
	;; [unrolled: 1-line block ×8, first 2 shown]
	v_sub_f32_e32 v34, v24, v29
	v_add_f32_e32 v26, v28, v26
	v_sub_f32_e32 v35, v25, v31
	v_add_f32_e32 v27, v30, v27
	v_sub_f32_e32 v37, v16, v19
	v_sub_f32_e32 v32, v17, v32
	v_fma_f32 v38, v24, 2.0, -v34
	v_fma_f32 v39, v28, 2.0, -v26
	v_sub_f32_e32 v19, v18, v20
	v_sub_f32_e32 v20, v21, v33
	v_fma_f32 v24, v25, 2.0, -v35
	v_fma_f32 v25, v30, 2.0, -v27
	v_fmamk_f32 v30, v35, 0x3f3504f3, v34
	v_fmamk_f32 v31, v27, 0x3f3504f3, v26
	v_fma_f32 v33, v16, 2.0, -v37
	v_fma_f32 v41, v17, 2.0, -v32
	;; [unrolled: 1-line block ×4, first 2 shown]
	v_fmamk_f32 v16, v24, 0xbf3504f3, v38
	v_fmamk_f32 v17, v25, 0xbf3504f3, v39
	v_sub_f32_e32 v28, v37, v20
	v_add_f32_e32 v29, v32, v19
	v_fmac_f32_e32 v30, 0xbf3504f3, v27
	v_fmac_f32_e32 v31, 0x3f3504f3, v35
	v_sub_f32_e32 v18, v33, v18
	v_sub_f32_e32 v19, v41, v21
	v_fmac_f32_e32 v16, 0xbf3504f3, v25
	v_fmac_f32_e32 v17, 0x3f3504f3, v24
	v_fma_f32 v20, v37, 2.0, -v28
	v_fma_f32 v21, v32, 2.0, -v29
	;; [unrolled: 1-line block ×8, first 2 shown]
	ds_write2_b64 v84, v[28:29], v[30:31] offset0:72 offset1:84
	ds_write2_b64 v84, v[20:21], v[24:25] offset0:24 offset1:36
	;; [unrolled: 1-line block ×3, first 2 shown]
	ds_write2_b64 v84, v[26:27], v[32:33] offset1:12
	s_waitcnt lgkmcnt(0)
	s_barrier
	buffer_gl0_inv
	ds_read2_b64 v[32:35], v78 offset1:144
	ds_read2_b64 v[36:39], v36 offset1:144
	;; [unrolled: 1-line block ×3, first 2 shown]
	s_and_saveexec_b32 s0, vcc_lo
	s_cbranch_execz .LBB0_7
; %bb.6:
	v_add_nc_u32_e32 v16, 0x100, v78
	ds_read2st64_b64 v[28:31], v16 offset0:4 offset1:10
	ds_read_b64 v[44:45], v78 offset:8448
.LBB0_7:
	s_or_b32 exec_lo, exec_lo, s0
	v_add_co_u32 v16, s0, 0xffffffa0, v77
	v_add_co_ci_u32_e64 v17, null, 0, -1, s0
	v_mov_b32_e32 v18, 0xaaab
	v_cndmask_b32_e32 v49, v16, v77, vcc_lo
	v_mov_b32_e32 v48, 3
	v_cndmask_b32_e64 v50, v17, 0, vcc_lo
	v_mul_u32_u24_sdwa v17, v22, v18 dst_sel:DWORD dst_unused:UNUSED_PAD src0_sel:WORD_0 src1_sel:DWORD
	v_mul_u32_u24_sdwa v18, v23, v18 dst_sel:DWORD dst_unused:UNUSED_PAD src0_sel:WORD_0 src1_sel:DWORD
	v_lshrrev_b32_e32 v51, 22, v17
	v_lshlrev_b64 v[16:17], 4, v[49:50]
	v_lshrrev_b32_e32 v18, 22, v18
	v_mul_lo_u16 v19, 0x60, v51
	v_mul_lo_u16 v18, 0x60, v18
	v_add_co_u32 v16, s0, s14, v16
	v_add_co_ci_u32_e64 v17, s0, s15, v17, s0
	v_sub_nc_u16 v50, v22, v19
	v_sub_nc_u16 v83, v23, v18
	global_load_dwordx4 v[24:27], v[16:17], off offset:736
	v_lshlrev_b16 v16, 4, v50
	v_lshlrev_b16 v17, 4, v83
	v_mad_u16 v50, 0x120, v51, v50
	v_and_b32_e32 v16, 0xffff, v16
	v_and_b32_e32 v18, 0xffff, v17
	v_lshlrev_b32_sdwa v85, v48, v50 dst_sel:DWORD dst_unused:UNUSED_PAD src0_sel:DWORD src1_sel:WORD_0
	v_add_co_u32 v16, s0, s14, v16
	v_add_co_ci_u32_e64 v17, null, s15, 0, s0
	v_add_co_u32 v18, s0, s14, v18
	v_add_co_ci_u32_e64 v19, null, s15, 0, s0
	s_clause 0x1
	global_load_dwordx4 v[20:23], v[16:17], off offset:736
	global_load_dwordx4 v[16:19], v[18:19], off offset:736
	v_cmp_lt_u16_e64 s0, 0x5f, v77
	s_waitcnt vmcnt(0) lgkmcnt(0)
	s_barrier
	buffer_gl0_inv
	v_cndmask_b32_e64 v71, 0, 0x120, s0
	v_add_lshl_u32 v86, v49, v71, 3
	v_mul_f32_e32 v49, v37, v25
	v_mul_f32_e32 v50, v36, v25
	;; [unrolled: 1-line block ×4, first 2 shown]
	v_fma_f32 v36, v36, v24, -v49
	v_fmac_f32_e32 v50, v37, v24
	v_fma_f32 v37, v40, v26, -v51
	v_fmac_f32_e32 v71, v41, v26
	v_add_f32_e32 v40, v32, v36
	v_add_f32_e32 v72, v33, v50
	;; [unrolled: 1-line block ×3, first 2 shown]
	v_sub_f32_e32 v51, v50, v71
	v_add_f32_e32 v50, v50, v71
	v_sub_f32_e32 v36, v36, v37
	v_add_f32_e32 v40, v40, v37
	v_fma_f32 v49, -0.5, v41, v32
	v_add_f32_e32 v41, v72, v71
	v_fma_f32 v50, -0.5, v50, v33
	v_mul_f32_e32 v37, v39, v21
	v_mul_f32_e32 v76, v31, v17
	;; [unrolled: 1-line block ×8, first 2 shown]
	v_fmamk_f32 v72, v36, 0xbf5db3d7, v50
	v_fmac_f32_e32 v50, 0x3f5db3d7, v36
	v_fma_f32 v37, v38, v20, -v37
	v_fma_f32 v36, v30, v16, -v76
	v_fmac_f32_e32 v33, v31, v16
	v_fma_f32 v30, v44, v18, -v87
	v_fmac_f32_e32 v32, v45, v18
	v_fmac_f32_e32 v73, v39, v20
	v_fma_f32 v38, v42, v22, -v74
	v_fmac_f32_e32 v75, v43, v22
	v_add_f32_e32 v31, v34, v37
	v_add_f32_e32 v74, v36, v30
	;; [unrolled: 1-line block ×3, first 2 shown]
	v_fmamk_f32 v71, v51, 0x3f5db3d7, v49
	v_fmac_f32_e32 v49, 0xbf5db3d7, v51
	v_add_f32_e32 v43, v37, v38
	v_add_f32_e32 v51, v73, v75
	v_sub_f32_e32 v45, v73, v75
	v_add_f32_e32 v44, v35, v73
	v_sub_f32_e32 v73, v37, v38
	v_sub_f32_e32 v37, v33, v32
	;; [unrolled: 1-line block ×3, first 2 shown]
	v_add_f32_e32 v42, v31, v38
	v_fma_f32 v31, -0.5, v74, v28
	v_fma_f32 v38, -0.5, v76, v29
	;; [unrolled: 1-line block ×3, first 2 shown]
	v_fmac_f32_e32 v35, -0.5, v51
	v_add_f32_e32 v43, v44, v75
	v_fmamk_f32 v75, v37, 0xbf5db3d7, v31
	v_fmamk_f32 v76, v39, 0x3f5db3d7, v38
	;; [unrolled: 1-line block ×3, first 2 shown]
	v_fmac_f32_e32 v34, 0xbf5db3d7, v45
	v_fmamk_f32 v45, v73, 0xbf5db3d7, v35
	v_fmac_f32_e32 v35, 0x3f5db3d7, v73
	ds_write2_b64 v86, v[40:41], v[71:72] offset1:96
	ds_write_b64 v86, v[49:50] offset:1536
	ds_write2_b64 v85, v[42:43], v[44:45] offset1:96
	ds_write_b64 v85, v[34:35] offset:1536
	s_and_saveexec_b32 s0, vcc_lo
	s_cbranch_execz .LBB0_9
; %bb.8:
	v_add_f32_e32 v29, v29, v33
	v_add_f32_e32 v28, v28, v36
	v_mul_f32_e32 v33, 0x3f5db3d7, v39
	v_mul_f32_e32 v34, 0x3f5db3d7, v37
	v_lshlrev_b32_sdwa v35, v48, v83 dst_sel:DWORD dst_unused:UNUSED_PAD src0_sel:DWORD src1_sel:WORD_0
	v_add_f32_e32 v29, v29, v32
	v_add_f32_e32 v28, v28, v30
	v_sub_f32_e32 v32, v38, v33
	v_add_f32_e32 v31, v34, v31
	v_add_nc_u32_e32 v30, 0x1800, v35
	ds_write2_b64 v30, v[28:29], v[31:32] offset0:96 offset1:192
	ds_write_b64 v35, v[75:76] offset:8448
.LBB0_9:
	s_or_b32 exec_lo, exec_lo, s0
	v_mad_u64_u32 v[32:33], null, v77, 24, s[14:15]
	s_waitcnt lgkmcnt(0)
	s_barrier
	buffer_gl0_inv
	v_add_nc_u32_e32 v103, 0x800, v78
	v_add_nc_u32_e32 v104, 0x1000, v78
	v_add_nc_u32_e32 v105, 0x1800, v78
	v_add_co_u32 v28, s0, 0x800, v32
	v_add_co_ci_u32_e64 v29, s0, 0, v33, s0
	v_add_co_u32 v34, s0, 0x8e0, v32
	v_add_co_ci_u32_e64 v35, s0, 0, v33, s0
	v_lshlrev_b32_e32 v44, 3, v77
	s_clause 0x1
	global_load_dwordx4 v[28:31], v[28:29], off offset:224
	global_load_dwordx2 v[71:72], v[34:35], off offset:16
	v_add_co_u32 v34, s0, 0x1000, v32
	v_add_co_ci_u32_e64 v35, s0, 0, v33, s0
	v_add_co_u32 v36, s0, 0x1660, v32
	v_add_co_ci_u32_e64 v37, s0, 0, v33, s0
	s_clause 0x1
	global_load_dwordx4 v[32:35], v[34:35], off offset:1632
	global_load_dwordx2 v[73:74], v[36:37], off offset:16
	ds_read2_b64 v[36:39], v103 offset0:32 offset1:176
	ds_read2_b64 v[40:43], v104 offset0:64 offset1:208
	;; [unrolled: 1-line block ×3, first 2 shown]
	ds_read2_b64 v[87:90], v78 offset1:144
	v_add_co_u32 v95, s0, s12, v44
	v_add_co_ci_u32_e64 v96, null, s13, 0, s0
	v_add_co_u32 v44, s0, 0x2000, v95
	v_add_co_ci_u32_e64 v45, s0, 0, v96, s0
	s_waitcnt vmcnt(3) lgkmcnt(3)
	v_mul_f32_e32 v91, v37, v29
	v_mul_f32_e32 v92, v36, v29
	s_waitcnt lgkmcnt(2)
	v_mul_f32_e32 v93, v41, v31
	v_mul_f32_e32 v94, v40, v31
	s_waitcnt vmcnt(2) lgkmcnt(1)
	v_mul_f32_e32 v97, v49, v72
	v_mul_f32_e32 v98, v48, v72
	v_fma_f32 v36, v36, v28, -v91
	v_fmac_f32_e32 v92, v37, v28
	v_fma_f32 v37, v40, v30, -v93
	v_fmac_f32_e32 v94, v41, v30
	v_fma_f32 v40, v48, v71, -v97
	s_waitcnt vmcnt(1)
	v_mul_f32_e32 v99, v39, v33
	v_mul_f32_e32 v100, v38, v33
	;; [unrolled: 1-line block ×4, first 2 shown]
	s_waitcnt vmcnt(0)
	v_mul_f32_e32 v106, v51, v74
	v_mul_f32_e32 v107, v50, v74
	v_fmac_f32_e32 v98, v49, v71
	v_fma_f32 v38, v38, v32, -v99
	v_fmac_f32_e32 v100, v39, v32
	v_fma_f32 v39, v42, v34, -v101
	;; [unrolled: 2-line block ×3, first 2 shown]
	v_fmac_f32_e32 v107, v51, v73
	s_waitcnt lgkmcnt(0)
	v_sub_f32_e32 v42, v87, v37
	v_sub_f32_e32 v43, v88, v94
	;; [unrolled: 1-line block ×8, first 2 shown]
	v_fma_f32 v87, v87, 2.0, -v42
	v_fma_f32 v88, v88, 2.0, -v43
	;; [unrolled: 1-line block ×8, first 2 shown]
	v_sub_f32_e32 v36, v42, v40
	v_add_f32_e32 v37, v43, v37
	v_sub_f32_e32 v38, v50, v41
	v_sub_f32_e32 v40, v87, v48
	;; [unrolled: 1-line block ×5, first 2 shown]
	v_add_f32_e32 v39, v51, v39
	v_fma_f32 v42, v42, 2.0, -v36
	v_fma_f32 v43, v43, 2.0, -v37
	;; [unrolled: 1-line block ×8, first 2 shown]
	ds_write_b64 v78, v[36:37] offset:6912
	ds_write_b64 v78, v[42:43] offset:2304
	ds_write_b64 v78, v[40:41] offset:4608
	ds_write2_b64 v78, v[87:88], v[89:90] offset1:144
	ds_write_b64 v78, v[50:51] offset:3456
	ds_write_b64 v78, v[48:49] offset:5760
	;; [unrolled: 1-line block ×3, first 2 shown]
	s_waitcnt lgkmcnt(0)
	s_barrier
	buffer_gl0_inv
	global_load_dwordx2 v[40:41], v[44:45], off offset:1024
	v_add_co_u32 v36, s0, 0x2800, v95
	v_add_co_ci_u32_e64 v37, s0, 0, v96, s0
	v_add_co_u32 v38, s0, 0x3000, v95
	v_add_co_ci_u32_e64 v39, s0, 0, v96, s0
	;; [unrolled: 2-line block ×3, first 2 shown]
	s_clause 0x2
	global_load_dwordx2 v[44:45], v[36:37], off offset:1280
	global_load_dwordx2 v[91:92], v[38:39], off offset:384
	;; [unrolled: 1-line block ×3, first 2 shown]
	v_add_co_u32 v36, s0, 0x3800, v95
	v_add_co_ci_u32_e64 v37, s0, 0, v96, s0
	v_add_co_u32 v42, s0, 0x4000, v95
	v_add_co_ci_u32_e64 v43, s0, 0, v96, s0
	s_clause 0x3
	global_load_dwordx2 v[95:96], v[38:39], off offset:1536
	global_load_dwordx2 v[97:98], v[36:37], off offset:1792
	;; [unrolled: 1-line block ×4, first 2 shown]
	ds_read2_b64 v[36:39], v78 offset1:144
	v_add_nc_u32_e32 v106, 0xc00, v78
	v_add_nc_u32_e32 v107, 0x1400, v78
	s_waitcnt vmcnt(7) lgkmcnt(0)
	v_mul_f32_e32 v43, v37, v41
	v_mul_f32_e32 v42, v36, v41
	v_fma_f32 v41, v36, v40, -v43
	v_fmac_f32_e32 v42, v37, v40
	ds_write_b64 v78, v[41:42]
	ds_read2_b64 v[40:43], v103 offset0:32 offset1:176
	ds_read2_b64 v[48:51], v104 offset0:64 offset1:208
	;; [unrolled: 1-line block ×3, first 2 shown]
	s_waitcnt vmcnt(4)
	v_mul_f32_e32 v36, v39, v94
	v_mul_f32_e32 v37, v38, v94
	v_add_nc_u32_e32 v94, 0x400, v78
	v_fma_f32 v36, v38, v93, -v36
	v_fmac_f32_e32 v37, v39, v93
	s_waitcnt lgkmcnt(2)
	v_mul_f32_e32 v38, v41, v45
	v_mul_f32_e32 v39, v40, v45
	s_waitcnt vmcnt(3) lgkmcnt(1)
	v_mul_f32_e32 v108, v49, v96
	v_mul_f32_e32 v45, v48, v96
	;; [unrolled: 1-line block ×4, first 2 shown]
	s_waitcnt vmcnt(2) lgkmcnt(0)
	v_mul_f32_e32 v109, v88, v98
	v_mul_f32_e32 v93, v87, v98
	s_waitcnt vmcnt(0)
	v_mul_f32_e32 v111, v51, v102
	v_mul_f32_e32 v98, v50, v102
	;; [unrolled: 1-line block ×4, first 2 shown]
	v_fma_f32 v38, v40, v44, -v38
	v_fmac_f32_e32 v39, v41, v44
	v_fma_f32 v44, v48, v95, -v108
	v_fmac_f32_e32 v45, v49, v95
	;; [unrolled: 2-line block ×6, first 2 shown]
	ds_write2_b64 v94, v[36:37], v[38:39] offset0:16 offset1:160
	ds_write2_b64 v106, v[95:96], v[44:45] offset0:48 offset1:192
	;; [unrolled: 1-line block ×3, first 2 shown]
	ds_write_b64 v78, v[101:102] offset:8064
	s_waitcnt lgkmcnt(0)
	s_barrier
	buffer_gl0_inv
	ds_read2_b64 v[36:39], v78 offset1:144
	ds_read2_b64 v[40:43], v104 offset0:64 offset1:208
	ds_read2_b64 v[48:51], v103 offset0:32 offset1:176
	;; [unrolled: 1-line block ×3, first 2 shown]
	s_waitcnt lgkmcnt(0)
	s_barrier
	buffer_gl0_inv
	v_sub_f32_e32 v44, v36, v40
	v_sub_f32_e32 v45, v37, v41
	;; [unrolled: 1-line block ×8, first 2 shown]
	v_fma_f32 v91, v36, 2.0, -v44
	v_fma_f32 v92, v37, 2.0, -v45
	;; [unrolled: 1-line block ×8, first 2 shown]
	v_add_f32_e32 v42, v44, v41
	v_sub_f32_e32 v43, v45, v40
	v_sub_f32_e32 v40, v91, v36
	;; [unrolled: 1-line block ×3, first 2 shown]
	v_add_f32_e32 v38, v87, v90
	v_sub_f32_e32 v39, v88, v89
	v_sub_f32_e32 v36, v93, v48
	;; [unrolled: 1-line block ×3, first 2 shown]
	v_fma_f32 v50, v44, 2.0, -v42
	v_fma_f32 v51, v45, 2.0, -v43
	;; [unrolled: 1-line block ×8, first 2 shown]
	ds_write_b128 v46, v[40:43] offset:16
	ds_write_b128 v47, v[36:39] offset:16
	ds_write_b128 v46, v[48:51]
	ds_write_b128 v47, v[87:90]
	s_waitcnt lgkmcnt(0)
	s_barrier
	buffer_gl0_inv
	ds_read2_b64 v[40:43], v78 offset1:144
	ds_read2_b64 v[48:51], v106 offset1:144
	;; [unrolled: 1-line block ×3, first 2 shown]
	s_and_saveexec_b32 s0, vcc_lo
	s_cbranch_execz .LBB0_11
; %bb.10:
	v_add_nc_u32_e32 v36, 0x100, v78
	ds_read2st64_b64 v[36:39], v36 offset0:4 offset1:10
	ds_read_b64 v[75:76], v78 offset:8448
.LBB0_11:
	s_or_b32 exec_lo, exec_lo, s0
	s_waitcnt lgkmcnt(1)
	v_mul_f32_e32 v87, v1, v49
	s_waitcnt lgkmcnt(0)
	v_mul_f32_e32 v89, v3, v45
	v_mul_f32_e32 v88, v1, v48
	v_mul_f32_e32 v90, v3, v44
	v_mul_f32_e32 v91, v1, v51
	v_fmac_f32_e32 v87, v0, v48
	v_fmac_f32_e32 v89, v2, v44
	v_mul_f32_e32 v44, v1, v39
	v_fma_f32 v49, v0, v49, -v88
	v_fma_f32 v45, v2, v45, -v90
	v_mul_f32_e32 v48, v1, v50
	v_mul_f32_e32 v88, v3, v47
	;; [unrolled: 1-line block ×3, first 2 shown]
	v_fmac_f32_e32 v44, v0, v38
	v_add_f32_e32 v38, v87, v89
	v_fmac_f32_e32 v91, v0, v50
	v_mul_f32_e32 v50, v3, v46
	v_fma_f32 v90, v0, v51, -v48
	v_fmac_f32_e32 v88, v2, v46
	v_fma_f32 v1, v0, v39, -v1
	v_mul_f32_e32 v0, v3, v76
	v_mul_f32_e32 v3, v3, v75
	v_fma_f32 v46, -0.5, v38, v40
	v_sub_f32_e32 v38, v49, v45
	v_fma_f32 v92, v2, v47, -v50
	v_fmac_f32_e32 v0, v2, v75
	v_fma_f32 v2, v2, v76, -v3
	v_add_f32_e32 v3, v49, v45
	v_fmamk_f32 v50, v38, 0xbf5db3d7, v46
	v_fmac_f32_e32 v46, 0x3f5db3d7, v38
	v_add_f32_e32 v38, v91, v88
	v_add_f32_e32 v39, v40, v87
	v_fma_f32 v47, -0.5, v3, v41
	v_sub_f32_e32 v3, v87, v89
	v_add_f32_e32 v40, v42, v91
	v_fma_f32 v42, -0.5, v38, v42
	v_sub_f32_e32 v38, v90, v92
	v_add_f32_e32 v48, v39, v89
	v_add_f32_e32 v39, v41, v49
	v_fmamk_f32 v51, v3, 0x3f5db3d7, v47
	v_fmac_f32_e32 v47, 0xbf5db3d7, v3
	v_add_f32_e32 v75, v40, v88
	v_fmamk_f32 v87, v38, 0xbf5db3d7, v42
	v_add_f32_e32 v3, v90, v92
	v_fmac_f32_e32 v42, 0x3f5db3d7, v38
	v_add_f32_e32 v38, v44, v0
	v_add_f32_e32 v40, v1, v2
	;; [unrolled: 1-line block ×4, first 2 shown]
	v_fmac_f32_e32 v43, -0.5, v3
	v_fma_f32 v3, -0.5, v38, v36
	v_sub_f32_e32 v41, v1, v2
	v_fma_f32 v40, -0.5, v40, v37
	v_sub_f32_e32 v45, v44, v0
	v_sub_f32_e32 v89, v91, v88
	v_add_f32_e32 v76, v39, v92
	v_fmamk_f32 v38, v41, 0x3f5db3d7, v3
	v_fmamk_f32 v39, v45, 0xbf5db3d7, v40
	;; [unrolled: 1-line block ×3, first 2 shown]
	v_fmac_f32_e32 v43, 0xbf5db3d7, v89
	s_barrier
	buffer_gl0_inv
	ds_write2_b64 v82, v[48:49], v[50:51] offset1:4
	ds_write_b64 v82, v[46:47] offset:64
	ds_write2_b64 v81, v[75:76], v[87:88] offset1:4
	ds_write_b64 v81, v[42:43] offset:64
	s_and_saveexec_b32 s0, vcc_lo
	s_cbranch_execz .LBB0_13
; %bb.12:
	v_mul_u32_u24_e32 v42, 12, v80
	v_add_f32_e32 v1, v1, v37
	v_add_f32_e32 v36, v44, v36
	v_mul_f32_e32 v37, 0x3f5db3d7, v45
	v_mul_f32_e32 v41, 0x3f5db3d7, v41
	v_or_b32_e32 v42, v42, v79
	v_add_f32_e32 v1, v2, v1
	v_add_f32_e32 v0, v36, v0
	;; [unrolled: 1-line block ×3, first 2 shown]
	v_sub_f32_e32 v36, v3, v41
	v_lshlrev_b32_e32 v2, 3, v42
	ds_write2_b64 v2, v[0:1], v[36:37] offset1:4
	ds_write_b64 v2, v[38:39] offset:64
.LBB0_13:
	s_or_b32 exec_lo, exec_lo, s0
	v_add_nc_u32_e32 v36, 0x800, v78
	s_waitcnt lgkmcnt(0)
	s_barrier
	buffer_gl0_inv
	ds_read2_b64 v[0:3], v78 offset1:144
	v_add_nc_u32_e32 v37, 0x1000, v78
	ds_read2_b64 v[40:43], v36 offset0:32 offset1:176
	v_add_nc_u32_e32 v36, 0x1800, v78
	ds_read2_b64 v[44:47], v37 offset0:64 offset1:208
	ds_read2_b64 v[48:51], v36 offset0:96 offset1:240
	s_waitcnt lgkmcnt(0)
	s_barrier
	buffer_gl0_inv
	v_mul_f32_e32 v37, v13, v3
	v_mul_f32_e32 v13, v13, v2
	v_fmac_f32_e32 v37, v12, v2
	v_fma_f32 v2, v12, v3, -v13
	v_mul_f32_e32 v3, v15, v41
	v_mul_f32_e32 v12, v15, v40
	;; [unrolled: 1-line block ×12, first 2 shown]
	v_fmac_f32_e32 v3, v14, v40
	v_fmac_f32_e32 v15, v10, v44
	;; [unrolled: 1-line block ×3, first 2 shown]
	v_fma_f32 v12, v14, v41, -v12
	v_fmac_f32_e32 v13, v8, v42
	v_fma_f32 v8, v8, v43, -v9
	v_fma_f32 v9, v10, v45, -v11
	v_fmac_f32_e32 v75, v4, v46
	v_fma_f32 v4, v4, v47, -v5
	v_sub_f32_e32 v5, v0, v15
	v_fma_f32 v6, v6, v49, -v7
	v_fmac_f32_e32 v79, v69, v50
	v_fma_f32 v7, v69, v51, -v70
	v_sub_f32_e32 v10, v3, v76
	v_sub_f32_e32 v9, v1, v9
	v_fma_f32 v0, v0, 2.0, -v5
	v_sub_f32_e32 v6, v12, v6
	v_sub_f32_e32 v11, v37, v75
	;; [unrolled: 1-line block ×3, first 2 shown]
	v_fma_f32 v3, v3, 2.0, -v10
	v_sub_f32_e32 v15, v13, v79
	v_sub_f32_e32 v7, v8, v7
	v_fma_f32 v1, v1, 2.0, -v9
	v_fma_f32 v12, v12, 2.0, -v6
	;; [unrolled: 1-line block ×4, first 2 shown]
	v_sub_f32_e32 v37, v0, v3
	v_fma_f32 v3, v13, 2.0, -v15
	v_add_f32_e32 v41, v5, v6
	v_fma_f32 v6, v8, 2.0, -v7
	v_sub_f32_e32 v42, v9, v10
	v_add_f32_e32 v13, v11, v7
	v_sub_f32_e32 v15, v4, v15
	v_sub_f32_e32 v40, v1, v12
	v_sub_f32_e32 v12, v14, v3
	v_sub_f32_e32 v43, v2, v6
	v_fma_f32 v10, v5, 2.0, -v41
	v_fma_f32 v44, v9, 2.0, -v42
	;; [unrolled: 1-line block ×8, first 2 shown]
	v_fmamk_f32 v6, v11, 0xbf3504f3, v10
	v_fmamk_f32 v7, v9, 0xbf3504f3, v44
	v_sub_f32_e32 v4, v0, v3
	v_sub_f32_e32 v5, v1, v2
	v_fmamk_f32 v2, v13, 0x3f3504f3, v41
	v_fmamk_f32 v3, v15, 0x3f3504f3, v42
	v_fmac_f32_e32 v6, 0x3f3504f3, v9
	v_fmac_f32_e32 v7, 0xbf3504f3, v11
	v_fma_f32 v8, v0, 2.0, -v4
	v_fma_f32 v9, v1, 2.0, -v5
	v_add_f32_e32 v0, v37, v43
	v_sub_f32_e32 v1, v40, v12
	v_fmac_f32_e32 v2, 0x3f3504f3, v15
	v_fmac_f32_e32 v3, 0xbf3504f3, v13
	v_fma_f32 v10, v10, 2.0, -v6
	v_fma_f32 v11, v44, 2.0, -v7
	;; [unrolled: 1-line block ×6, first 2 shown]
	ds_write2_b64 v84, v[8:9], v[10:11] offset1:12
	ds_write2_b64 v84, v[12:13], v[14:15] offset0:24 offset1:36
	ds_write2_b64 v84, v[4:5], v[6:7] offset0:48 offset1:60
	;; [unrolled: 1-line block ×3, first 2 shown]
	v_add_nc_u32_e32 v8, 0xc00, v78
	s_waitcnt lgkmcnt(0)
	s_barrier
	buffer_gl0_inv
	ds_read2_b64 v[4:7], v78 offset1:144
	ds_read2_b64 v[12:15], v8 offset1:144
	;; [unrolled: 1-line block ×3, first 2 shown]
	s_and_saveexec_b32 s0, vcc_lo
	s_cbranch_execz .LBB0_15
; %bb.14:
	v_add_nc_u32_e32 v0, 0x100, v78
	ds_read2st64_b64 v[0:3], v0 offset0:4 offset1:10
	ds_read_b64 v[38:39], v78 offset:8448
.LBB0_15:
	s_or_b32 exec_lo, exec_lo, s0
	s_waitcnt lgkmcnt(1)
	v_mul_f32_e32 v36, v25, v13
	v_mul_f32_e32 v25, v25, v12
	s_waitcnt lgkmcnt(0)
	v_mul_f32_e32 v37, v27, v9
	v_mul_f32_e32 v27, v27, v8
	v_fmac_f32_e32 v36, v24, v12
	v_fma_f32 v12, v24, v13, -v25
	v_mul_f32_e32 v13, v21, v15
	v_fmac_f32_e32 v37, v26, v8
	v_mul_f32_e32 v8, v21, v14
	v_fma_f32 v9, v26, v9, -v27
	v_mul_f32_e32 v21, v23, v11
	v_fmac_f32_e32 v13, v20, v14
	v_mul_f32_e32 v14, v23, v10
	v_fma_f32 v15, v20, v15, -v8
	v_add_f32_e32 v8, v36, v37
	v_fmac_f32_e32 v21, v22, v10
	v_add_f32_e32 v10, v4, v36
	v_fma_f32 v20, v22, v11, -v14
	v_add_f32_e32 v11, v12, v9
	v_fma_f32 v4, -0.5, v8, v4
	v_sub_f32_e32 v14, v12, v9
	v_add_f32_e32 v12, v5, v12
	v_add_f32_e32 v8, v10, v37
	v_fma_f32 v5, -0.5, v11, v5
	v_sub_f32_e32 v22, v36, v37
	v_fmamk_f32 v10, v14, 0xbf5db3d7, v4
	v_fmac_f32_e32 v4, 0x3f5db3d7, v14
	v_add_f32_e32 v9, v12, v9
	v_add_f32_e32 v12, v13, v21
	;; [unrolled: 1-line block ×3, first 2 shown]
	v_fmamk_f32 v11, v22, 0x3f5db3d7, v5
	v_fmac_f32_e32 v5, 0xbf5db3d7, v22
	v_add_f32_e32 v22, v6, v13
	v_fma_f32 v6, -0.5, v12, v6
	v_sub_f32_e32 v23, v15, v20
	v_add_f32_e32 v15, v7, v15
	v_fmac_f32_e32 v7, -0.5, v14
	v_sub_f32_e32 v24, v13, v21
	v_add_f32_e32 v12, v22, v21
	v_fmamk_f32 v14, v23, 0xbf5db3d7, v6
	v_add_f32_e32 v13, v15, v20
	v_fmac_f32_e32 v6, 0x3f5db3d7, v23
	v_fmamk_f32 v15, v24, 0x3f5db3d7, v7
	v_fmac_f32_e32 v7, 0xbf5db3d7, v24
	s_barrier
	buffer_gl0_inv
	ds_write2_b64 v86, v[8:9], v[10:11] offset1:96
	ds_write_b64 v86, v[4:5] offset:1536
	ds_write2_b64 v85, v[12:13], v[14:15] offset1:96
	ds_write_b64 v85, v[6:7] offset:1536
	s_and_saveexec_b32 s0, vcc_lo
	s_cbranch_execz .LBB0_17
; %bb.16:
	v_mul_f32_e32 v4, v19, v38
	v_mul_f32_e32 v5, v17, v2
	;; [unrolled: 1-line block ×4, first 2 shown]
	v_mov_b32_e32 v8, 3
	v_fma_f32 v4, v18, v39, -v4
	v_fma_f32 v3, v16, v3, -v5
	v_fmac_f32_e32 v6, v16, v2
	v_fmac_f32_e32 v7, v18, v38
	v_lshlrev_b32_sdwa v8, v8, v83 dst_sel:DWORD dst_unused:UNUSED_PAD src0_sel:DWORD src1_sel:WORD_0
	v_add_f32_e32 v2, v3, v4
	v_add_f32_e32 v5, v3, v1
	;; [unrolled: 1-line block ×4, first 2 shown]
	v_sub_f32_e32 v6, v6, v7
	v_fmac_f32_e32 v1, -0.5, v2
	v_sub_f32_e32 v11, v3, v4
	v_fmac_f32_e32 v0, -0.5, v9
	v_add_f32_e32 v3, v4, v5
	v_add_f32_e32 v2, v10, v7
	v_fmamk_f32 v5, v6, 0xbf5db3d7, v1
	v_fmac_f32_e32 v1, 0x3f5db3d7, v6
	v_fmamk_f32 v4, v11, 0x3f5db3d7, v0
	v_add_nc_u32_e32 v6, 0x1800, v8
	v_fmac_f32_e32 v0, 0xbf5db3d7, v11
	ds_write2_b64 v6, v[2:3], v[0:1] offset0:96 offset1:192
	ds_write_b64 v8, v[4:5] offset:8448
.LBB0_17:
	s_or_b32 exec_lo, exec_lo, s0
	v_add_nc_u32_e32 v16, 0x800, v78
	v_add_nc_u32_e32 v17, 0x1000, v78
	;; [unrolled: 1-line block ×3, first 2 shown]
	s_waitcnt lgkmcnt(0)
	s_barrier
	buffer_gl0_inv
	ds_read2_b64 v[0:3], v16 offset0:32 offset1:176
	ds_read2_b64 v[4:7], v17 offset0:64 offset1:208
	;; [unrolled: 1-line block ×3, first 2 shown]
	ds_read2_b64 v[12:15], v78 offset1:144
	s_mov_b32 s0, 0x1c71c71c
	s_mov_b32 s1, 0x3f4c71c7
	s_waitcnt lgkmcnt(3)
	v_mul_f32_e32 v18, v29, v1
	v_mul_f32_e32 v19, v29, v0
	s_waitcnt lgkmcnt(2)
	v_mul_f32_e32 v20, v31, v5
	v_mul_f32_e32 v21, v31, v4
	;; [unrolled: 3-line block ×3, first 2 shown]
	v_mul_f32_e32 v24, v33, v3
	v_mul_f32_e32 v25, v33, v2
	;; [unrolled: 1-line block ×6, first 2 shown]
	v_fmac_f32_e32 v18, v28, v0
	v_fma_f32 v0, v28, v1, -v19
	v_fmac_f32_e32 v20, v30, v4
	v_fma_f32 v1, v30, v5, -v21
	;; [unrolled: 2-line block ×6, first 2 shown]
	s_waitcnt lgkmcnt(0)
	v_sub_f32_e32 v6, v12, v20
	v_sub_f32_e32 v7, v18, v22
	v_sub_f32_e32 v19, v13, v1
	v_sub_f32_e32 v1, v0, v4
	v_sub_f32_e32 v20, v14, v27
	v_fma_f32 v4, v12, 2.0, -v6
	v_fma_f32 v8, v18, 2.0, -v7
	v_sub_f32_e32 v18, v15, v2
	v_sub_f32_e32 v11, v24, v31
	v_fma_f32 v9, v13, 2.0, -v19
	v_fma_f32 v10, v0, 2.0, -v1
	v_sub_f32_e32 v12, v3, v5
	v_sub_f32_e32 v0, v4, v8
	v_add_f32_e32 v2, v6, v1
	v_fma_f32 v13, v14, 2.0, -v20
	v_sub_f32_e32 v1, v9, v10
	v_fma_f32 v14, v15, 2.0, -v18
	v_fma_f32 v8, v24, 2.0, -v11
	;; [unrolled: 1-line block ×3, first 2 shown]
	v_sub_f32_e32 v3, v19, v7
	v_fma_f32 v5, v9, 2.0, -v1
	v_sub_f32_e32 v11, v18, v11
	v_sub_f32_e32 v8, v13, v8
	;; [unrolled: 1-line block ×3, first 2 shown]
	v_add_f32_e32 v10, v20, v12
	v_fma_f32 v6, v6, 2.0, -v2
	v_fma_f32 v7, v19, 2.0, -v3
	;; [unrolled: 1-line block ×7, first 2 shown]
	ds_write_b64 v78, v[6:7] offset:2304
	ds_write_b64 v78, v[0:1] offset:4608
	;; [unrolled: 1-line block ×3, first 2 shown]
	ds_write2_b64 v78, v[4:5], v[12:13] offset1:144
	ds_write_b64 v78, v[14:15] offset:3456
	ds_write_b64 v78, v[8:9] offset:5760
	;; [unrolled: 1-line block ×3, first 2 shown]
	s_waitcnt lgkmcnt(0)
	s_barrier
	buffer_gl0_inv
	ds_read2_b64 v[0:3], v78 offset1:144
	ds_read2_b64 v[4:7], v16 offset0:32 offset1:176
	v_mad_u64_u32 v[12:13], null, s10, v52, 0
	ds_read2_b64 v[8:11], v17 offset0:64 offset1:208
	v_mad_u64_u32 v[18:19], null, s8, v77, 0
	s_waitcnt lgkmcnt(2)
	v_mul_f32_e32 v14, v58, v1
	v_mul_f32_e32 v15, v58, v0
	s_waitcnt lgkmcnt(1)
	v_mul_f32_e32 v20, v68, v5
	s_waitcnt lgkmcnt(0)
	v_mul_f32_e32 v21, v66, v9
	v_fmac_f32_e32 v14, v57, v0
	v_fma_f32 v16, v57, v1, -v15
	v_mul_f32_e32 v22, v66, v8
	v_fmac_f32_e32 v20, v67, v4
	v_fmac_f32_e32 v21, v65, v8
	v_mad_u64_u32 v[0:1], null, s11, v52, v[13:14]
	v_cvt_f64_f32_e32 v[14:15], v14
	v_cvt_f64_f32_e32 v[16:17], v16
	v_mul_f32_e32 v1, v68, v4
	v_mul_f32_e32 v28, v60, v11
	;; [unrolled: 1-line block ×3, first 2 shown]
	v_mov_b32_e32 v13, v0
	v_mov_b32_e32 v0, v19
	v_fma_f32 v19, v67, v5, -v1
	v_cvt_f64_f32_e32 v[4:5], v20
	v_cvt_f64_f32_e32 v[20:21], v21
	v_fmac_f32_e32 v28, v59, v10
	v_mad_u64_u32 v[0:1], null, s9, v77, v[0:1]
	v_fma_f32 v1, v65, v9, -v22
	v_cvt_f64_f32_e32 v[8:9], v19
	v_fma_f32 v29, v59, v11, -v29
	v_cvt_f64_f32_e32 v[10:11], v28
	v_cvt_f64_f32_e32 v[24:25], v1
	v_mov_b32_e32 v19, v0
	v_lshlrev_b64 v[0:1], 3, v[12:13]
	v_mul_f64 v[22:23], v[14:15], s[0:1]
	ds_read2_b64 v[12:15], v26 offset0:96 offset1:240
	v_mul_f64 v[16:17], v[16:17], s[0:1]
	v_lshlrev_b64 v[18:19], 3, v[18:19]
	v_mul_f32_e32 v26, v54, v7
	v_add_co_u32 v0, vcc_lo, s2, v0
	v_add_co_ci_u32_e32 v1, vcc_lo, s3, v1, vcc_lo
	v_mul_f64 v[4:5], v[4:5], s[0:1]
	v_add_co_u32 v0, vcc_lo, v0, v18
	v_add_co_ci_u32_e32 v1, vcc_lo, v1, v19, vcc_lo
	v_mul_f64 v[18:19], v[20:21], s[0:1]
	v_mul_f64 v[8:9], v[8:9], s[0:1]
	v_fmac_f32_e32 v26, v53, v6
	v_mul_f32_e32 v6, v54, v6
	s_mul_i32 s2, s9, 0x900
	s_mul_hi_u32 s3, s8, 0x900
	v_mul_f64 v[10:11], v[10:11], s[0:1]
	s_waitcnt lgkmcnt(0)
	v_mul_f32_e32 v30, v64, v15
	v_cvt_f32_f64_e32 v20, v[22:23]
	v_mul_f32_e32 v22, v62, v13
	v_mul_f32_e32 v23, v62, v12
	v_cvt_f32_f64_e32 v21, v[16:17]
	v_mul_f64 v[16:17], v[24:25], s[0:1]
	v_mul_f32_e32 v24, v56, v3
	v_mul_f32_e32 v25, v56, v2
	v_fmac_f32_e32 v22, v61, v12
	v_fma_f32 v12, v61, v13, -v23
	v_mul_f32_e32 v31, v64, v14
	v_fmac_f32_e32 v24, v55, v2
	v_fma_f32 v25, v55, v3, -v25
	v_cvt_f64_f32_e32 v[2:3], v22
	v_cvt_f64_f32_e32 v[12:13], v12
	v_fma_f32 v6, v53, v7, -v6
	v_cvt_f64_f32_e32 v[22:23], v24
	v_cvt_f64_f32_e32 v[24:25], v25
	v_fmac_f32_e32 v30, v63, v14
	v_fma_f32 v31, v63, v15, -v31
	v_cvt_f64_f32_e32 v[26:27], v26
	v_cvt_f64_f32_e32 v[6:7], v6
	;; [unrolled: 1-line block ×5, first 2 shown]
	v_cvt_f32_f64_e32 v4, v[4:5]
	v_cvt_f32_f64_e32 v5, v[8:9]
	s_add_i32 s3, s3, s2
	s_mul_i32 s2, s8, 0x900
	v_cvt_f32_f64_e32 v18, v[18:19]
	v_cvt_f32_f64_e32 v19, v[16:17]
	global_store_dwordx2 v[0:1], v[20:21], off
	v_mul_f64 v[2:3], v[2:3], s[0:1]
	v_mul_f64 v[8:9], v[12:13], s[0:1]
	;; [unrolled: 1-line block ×4, first 2 shown]
	v_add_co_u32 v24, vcc_lo, v0, s2
	v_mul_f64 v[16:17], v[26:27], s[0:1]
	v_mul_f64 v[6:7], v[6:7], s[0:1]
	;; [unrolled: 1-line block ×5, first 2 shown]
	v_add_co_ci_u32_e32 v25, vcc_lo, s3, v1, vcc_lo
	v_add_co_u32 v30, vcc_lo, v24, s2
	s_mul_i32 s0, s9, 0xffffe980
	v_add_co_ci_u32_e32 v31, vcc_lo, s3, v25, vcc_lo
	s_sub_i32 s0, s0, s8
	global_store_dwordx2 v[24:25], v[4:5], off
	v_cvt_f32_f64_e32 v2, v[2:3]
	v_cvt_f32_f64_e32 v3, v[8:9]
	v_add_co_u32 v8, vcc_lo, v30, s2
	v_add_co_ci_u32_e32 v9, vcc_lo, s3, v31, vcc_lo
	v_cvt_f32_f64_e32 v12, v[12:13]
	v_cvt_f32_f64_e32 v13, v[22:23]
	;; [unrolled: 1-line block ×3, first 2 shown]
	v_mad_u64_u32 v[22:23], null, 0xffffe980, s8, v[8:9]
	v_cvt_f32_f64_e32 v17, v[6:7]
	v_cvt_f32_f64_e32 v6, v[10:11]
	;; [unrolled: 1-line block ×5, first 2 shown]
	global_store_dwordx2 v[30:31], v[18:19], off
	v_add_nc_u32_e32 v23, s0, v23
	v_add_co_u32 v0, vcc_lo, v22, s2
	v_add_co_ci_u32_e32 v1, vcc_lo, s3, v23, vcc_lo
	v_add_co_u32 v4, vcc_lo, v0, s2
	v_add_co_ci_u32_e32 v5, vcc_lo, s3, v1, vcc_lo
	;; [unrolled: 2-line block ×3, first 2 shown]
	global_store_dwordx2 v[8:9], v[2:3], off
	global_store_dwordx2 v[22:23], v[12:13], off
	;; [unrolled: 1-line block ×5, first 2 shown]
.LBB0_18:
	s_endpgm
	.section	.rodata,"a",@progbits
	.p2align	6, 0x0
	.amdhsa_kernel bluestein_single_back_len1152_dim1_sp_op_CI_CI
		.amdhsa_group_segment_fixed_size 9216
		.amdhsa_private_segment_fixed_size 0
		.amdhsa_kernarg_size 104
		.amdhsa_user_sgpr_count 6
		.amdhsa_user_sgpr_private_segment_buffer 1
		.amdhsa_user_sgpr_dispatch_ptr 0
		.amdhsa_user_sgpr_queue_ptr 0
		.amdhsa_user_sgpr_kernarg_segment_ptr 1
		.amdhsa_user_sgpr_dispatch_id 0
		.amdhsa_user_sgpr_flat_scratch_init 0
		.amdhsa_user_sgpr_private_segment_size 0
		.amdhsa_wavefront_size32 1
		.amdhsa_uses_dynamic_stack 0
		.amdhsa_system_sgpr_private_segment_wavefront_offset 0
		.amdhsa_system_sgpr_workgroup_id_x 1
		.amdhsa_system_sgpr_workgroup_id_y 0
		.amdhsa_system_sgpr_workgroup_id_z 0
		.amdhsa_system_sgpr_workgroup_info 0
		.amdhsa_system_vgpr_workitem_id 0
		.amdhsa_next_free_vgpr 113
		.amdhsa_next_free_sgpr 20
		.amdhsa_reserve_vcc 1
		.amdhsa_reserve_flat_scratch 0
		.amdhsa_float_round_mode_32 0
		.amdhsa_float_round_mode_16_64 0
		.amdhsa_float_denorm_mode_32 3
		.amdhsa_float_denorm_mode_16_64 3
		.amdhsa_dx10_clamp 1
		.amdhsa_ieee_mode 1
		.amdhsa_fp16_overflow 0
		.amdhsa_workgroup_processor_mode 1
		.amdhsa_memory_ordered 1
		.amdhsa_forward_progress 0
		.amdhsa_shared_vgpr_count 0
		.amdhsa_exception_fp_ieee_invalid_op 0
		.amdhsa_exception_fp_denorm_src 0
		.amdhsa_exception_fp_ieee_div_zero 0
		.amdhsa_exception_fp_ieee_overflow 0
		.amdhsa_exception_fp_ieee_underflow 0
		.amdhsa_exception_fp_ieee_inexact 0
		.amdhsa_exception_int_div_zero 0
	.end_amdhsa_kernel
	.text
.Lfunc_end0:
	.size	bluestein_single_back_len1152_dim1_sp_op_CI_CI, .Lfunc_end0-bluestein_single_back_len1152_dim1_sp_op_CI_CI
                                        ; -- End function
	.section	.AMDGPU.csdata,"",@progbits
; Kernel info:
; codeLenInByte = 7568
; NumSgprs: 22
; NumVgprs: 113
; ScratchSize: 0
; MemoryBound: 0
; FloatMode: 240
; IeeeMode: 1
; LDSByteSize: 9216 bytes/workgroup (compile time only)
; SGPRBlocks: 2
; VGPRBlocks: 14
; NumSGPRsForWavesPerEU: 22
; NumVGPRsForWavesPerEU: 113
; Occupancy: 8
; WaveLimiterHint : 1
; COMPUTE_PGM_RSRC2:SCRATCH_EN: 0
; COMPUTE_PGM_RSRC2:USER_SGPR: 6
; COMPUTE_PGM_RSRC2:TRAP_HANDLER: 0
; COMPUTE_PGM_RSRC2:TGID_X_EN: 1
; COMPUTE_PGM_RSRC2:TGID_Y_EN: 0
; COMPUTE_PGM_RSRC2:TGID_Z_EN: 0
; COMPUTE_PGM_RSRC2:TIDIG_COMP_CNT: 0
	.text
	.p2alignl 6, 3214868480
	.fill 48, 4, 3214868480
	.type	__hip_cuid_214c036857775995,@object ; @__hip_cuid_214c036857775995
	.section	.bss,"aw",@nobits
	.globl	__hip_cuid_214c036857775995
__hip_cuid_214c036857775995:
	.byte	0                               ; 0x0
	.size	__hip_cuid_214c036857775995, 1

	.ident	"AMD clang version 19.0.0git (https://github.com/RadeonOpenCompute/llvm-project roc-6.4.0 25133 c7fe45cf4b819c5991fe208aaa96edf142730f1d)"
	.section	".note.GNU-stack","",@progbits
	.addrsig
	.addrsig_sym __hip_cuid_214c036857775995
	.amdgpu_metadata
---
amdhsa.kernels:
  - .args:
      - .actual_access:  read_only
        .address_space:  global
        .offset:         0
        .size:           8
        .value_kind:     global_buffer
      - .actual_access:  read_only
        .address_space:  global
        .offset:         8
        .size:           8
        .value_kind:     global_buffer
      - .actual_access:  read_only
        .address_space:  global
        .offset:         16
        .size:           8
        .value_kind:     global_buffer
      - .actual_access:  read_only
        .address_space:  global
        .offset:         24
        .size:           8
        .value_kind:     global_buffer
      - .actual_access:  read_only
        .address_space:  global
        .offset:         32
        .size:           8
        .value_kind:     global_buffer
      - .offset:         40
        .size:           8
        .value_kind:     by_value
      - .address_space:  global
        .offset:         48
        .size:           8
        .value_kind:     global_buffer
      - .address_space:  global
        .offset:         56
        .size:           8
        .value_kind:     global_buffer
      - .address_space:  global
        .offset:         64
        .size:           8
        .value_kind:     global_buffer
      - .address_space:  global
        .offset:         72
        .size:           8
        .value_kind:     global_buffer
      - .offset:         80
        .size:           4
        .value_kind:     by_value
      - .address_space:  global
        .offset:         88
        .size:           8
        .value_kind:     global_buffer
      - .address_space:  global
        .offset:         96
        .size:           8
        .value_kind:     global_buffer
    .group_segment_fixed_size: 9216
    .kernarg_segment_align: 8
    .kernarg_segment_size: 104
    .language:       OpenCL C
    .language_version:
      - 2
      - 0
    .max_flat_workgroup_size: 144
    .name:           bluestein_single_back_len1152_dim1_sp_op_CI_CI
    .private_segment_fixed_size: 0
    .sgpr_count:     22
    .sgpr_spill_count: 0
    .symbol:         bluestein_single_back_len1152_dim1_sp_op_CI_CI.kd
    .uniform_work_group_size: 1
    .uses_dynamic_stack: false
    .vgpr_count:     113
    .vgpr_spill_count: 0
    .wavefront_size: 32
    .workgroup_processor_mode: 1
amdhsa.target:   amdgcn-amd-amdhsa--gfx1030
amdhsa.version:
  - 1
  - 2
...

	.end_amdgpu_metadata
